;; amdgpu-corpus repo=ROCm/rocm-examples kind=compiled arch=gfx906 opt=O3
	.amdgcn_target "amdgcn-amd-amdhsa--gfx906"
	.amdhsa_code_object_version 6
	.section	.text._Z14moving_averageILj256ELj97EEvPKjPjj,"axG",@progbits,_Z14moving_averageILj256ELj97EEvPKjPjj,comdat
	.protected	_Z14moving_averageILj256ELj97EEvPKjPjj ; -- Begin function _Z14moving_averageILj256ELj97EEvPKjPjj
	.globl	_Z14moving_averageILj256ELj97EEvPKjPjj
	.p2align	8
	.type	_Z14moving_averageILj256ELj97EEvPKjPjj,@function
_Z14moving_averageILj256ELj97EEvPKjPjj: ; @_Z14moving_averageILj256ELj97EEvPKjPjj
; %bb.0:
	s_load_dword s7, s[4:5], 0x24
	s_load_dwordx4 s[0:3], s[4:5], 0x0
	s_load_dword s10, s[4:5], 0x10
	v_lshlrev_b32_e32 v3, 2, v0
	s_waitcnt lgkmcnt(0)
	s_and_b32 s4, s7, 0xffff
	s_mul_i32 s11, s6, s4
	s_movk_i32 s4, 0x160
	v_cmp_gt_u32_e32 vcc, s4, v0
	s_and_saveexec_b64 s[4:5], vcc
	s_cbranch_execz .LBB0_5
; %bb.1:
	s_mov_b64 s[6:7], 0
	v_mov_b32_e32 v2, 0
	s_movk_i32 s12, 0x5f
	v_mov_b32_e32 v4, v3
	v_mov_b32_e32 v5, v0
	s_branch .LBB0_3
.LBB0_2:                                ;   in Loop: Header=BB0_3 Depth=1
	s_or_b64 exec, exec, s[8:9]
	v_add_u32_e32 v1, 0x100, v5
	v_cmp_lt_u32_e32 vcc, s12, v5
	v_add_u32_e32 v4, 0x400, v4
	s_or_b64 s[6:7], vcc, s[6:7]
	v_mov_b32_e32 v5, v1
	s_andn2_b64 exec, exec, s[6:7]
	s_cbranch_execz .LBB0_5
.LBB0_3:                                ; =>This Inner Loop Header: Depth=1
	v_add_u32_e32 v1, s11, v5
	v_cmp_gt_u32_e32 vcc, s10, v1
	s_and_saveexec_b64 s[8:9], vcc
	s_cbranch_execz .LBB0_2
; %bb.4:                                ;   in Loop: Header=BB0_3 Depth=1
	v_lshlrev_b64 v[6:7], 2, v[1:2]
	v_mov_b32_e32 v1, s1
	v_add_co_u32_e32 v6, vcc, s0, v6
	v_addc_co_u32_e32 v7, vcc, v1, v7, vcc
	global_load_dword v1, v[6:7], off
	s_waitcnt vmcnt(0)
	ds_write_b32 v4, v1
	s_branch .LBB0_2
.LBB0_5:
	s_or_b64 exec, exec, s[4:5]
	v_add_u32_e32 v0, s11, v0
	s_addk_i32 s10, 0xffa0
	v_cmp_gt_u32_e32 vcc, s10, v0
	s_waitcnt lgkmcnt(0)
	s_barrier
	s_and_saveexec_b64 s[0:1], vcc
	s_cbranch_execz .LBB0_11
; %bb.6:
	v_mov_b32_e32 v1, 0
	v_mov_b32_e32 v4, 0
	s_movk_i32 s4, 0x180
	s_branch .LBB0_8
.LBB0_7:                                ;   in Loop: Header=BB0_8 Depth=1
	s_andn2_b64 vcc, exec, s[0:1]
	s_cbranch_vccz .LBB0_10
.LBB0_8:                                ; =>This Inner Loop Header: Depth=1
	v_add_u32_e32 v5, v3, v1
	ds_read_b32 v2, v5
	v_cmp_eq_u32_e32 vcc, s4, v1
	s_and_b64 vcc, exec, vcc
	s_mov_b64 s[0:1], -1
	s_waitcnt lgkmcnt(0)
	v_add_u32_e32 v2, v2, v4
                                        ; implicit-def: $vgpr4
	s_cbranch_vccnz .LBB0_7
; %bb.9:                                ;   in Loop: Header=BB0_8 Depth=1
	ds_read2_b32 v[6:7], v5 offset0:1 offset1:2
	ds_read2_b32 v[8:9], v5 offset0:3 offset1:4
	ds_read2_b32 v[10:11], v5 offset0:5 offset1:6
	ds_read_b32 v4, v5 offset:28
	v_add_u32_e32 v1, 32, v1
	s_waitcnt lgkmcnt(3)
	v_add_u32_e32 v5, v6, v2
	s_waitcnt lgkmcnt(2)
	v_add3_u32 v5, v7, v5, v8
	s_waitcnt lgkmcnt(1)
	v_add3_u32 v5, v9, v5, v10
	;; [unrolled: 2-line block ×3, first 2 shown]
	s_mov_b64 s[0:1], 0
	s_branch .LBB0_7
.LBB0_10:
	s_mov_b32 s0, 0x51d07eaf
	v_mul_hi_u32 v3, v2, s0
	v_mov_b32_e32 v1, 0
	v_lshlrev_b64 v[0:1], 2, v[0:1]
	v_mov_b32_e32 v4, s3
	v_sub_u32_e32 v2, v2, v3
	v_lshrrev_b32_e32 v2, 1, v2
	v_add_u32_e32 v2, v2, v3
	v_add_co_u32_e32 v0, vcc, s2, v0
	v_lshrrev_b32_e32 v2, 6, v2
	v_addc_co_u32_e32 v1, vcc, v4, v1, vcc
	global_store_dword v[0:1], v2, off
.LBB0_11:
	s_endpgm
	.section	.rodata,"a",@progbits
	.p2align	6, 0x0
	.amdhsa_kernel _Z14moving_averageILj256ELj97EEvPKjPjj
		.amdhsa_group_segment_fixed_size 1408
		.amdhsa_private_segment_fixed_size 0
		.amdhsa_kernarg_size 280
		.amdhsa_user_sgpr_count 6
		.amdhsa_user_sgpr_private_segment_buffer 1
		.amdhsa_user_sgpr_dispatch_ptr 0
		.amdhsa_user_sgpr_queue_ptr 0
		.amdhsa_user_sgpr_kernarg_segment_ptr 1
		.amdhsa_user_sgpr_dispatch_id 0
		.amdhsa_user_sgpr_flat_scratch_init 0
		.amdhsa_user_sgpr_private_segment_size 0
		.amdhsa_uses_dynamic_stack 0
		.amdhsa_system_sgpr_private_segment_wavefront_offset 0
		.amdhsa_system_sgpr_workgroup_id_x 1
		.amdhsa_system_sgpr_workgroup_id_y 0
		.amdhsa_system_sgpr_workgroup_id_z 0
		.amdhsa_system_sgpr_workgroup_info 0
		.amdhsa_system_vgpr_workitem_id 0
		.amdhsa_next_free_vgpr 12
		.amdhsa_next_free_sgpr 13
		.amdhsa_reserve_vcc 1
		.amdhsa_reserve_flat_scratch 0
		.amdhsa_float_round_mode_32 0
		.amdhsa_float_round_mode_16_64 0
		.amdhsa_float_denorm_mode_32 3
		.amdhsa_float_denorm_mode_16_64 3
		.amdhsa_dx10_clamp 1
		.amdhsa_ieee_mode 1
		.amdhsa_fp16_overflow 0
		.amdhsa_exception_fp_ieee_invalid_op 0
		.amdhsa_exception_fp_denorm_src 0
		.amdhsa_exception_fp_ieee_div_zero 0
		.amdhsa_exception_fp_ieee_overflow 0
		.amdhsa_exception_fp_ieee_underflow 0
		.amdhsa_exception_fp_ieee_inexact 0
		.amdhsa_exception_int_div_zero 0
	.end_amdhsa_kernel
	.section	.text._Z14moving_averageILj256ELj97EEvPKjPjj,"axG",@progbits,_Z14moving_averageILj256ELj97EEvPKjPjj,comdat
.Lfunc_end0:
	.size	_Z14moving_averageILj256ELj97EEvPKjPjj, .Lfunc_end0-_Z14moving_averageILj256ELj97EEvPKjPjj
                                        ; -- End function
	.set _Z14moving_averageILj256ELj97EEvPKjPjj.num_vgpr, 12
	.set _Z14moving_averageILj256ELj97EEvPKjPjj.num_agpr, 0
	.set _Z14moving_averageILj256ELj97EEvPKjPjj.numbered_sgpr, 13
	.set _Z14moving_averageILj256ELj97EEvPKjPjj.num_named_barrier, 0
	.set _Z14moving_averageILj256ELj97EEvPKjPjj.private_seg_size, 0
	.set _Z14moving_averageILj256ELj97EEvPKjPjj.uses_vcc, 1
	.set _Z14moving_averageILj256ELj97EEvPKjPjj.uses_flat_scratch, 0
	.set _Z14moving_averageILj256ELj97EEvPKjPjj.has_dyn_sized_stack, 0
	.set _Z14moving_averageILj256ELj97EEvPKjPjj.has_recursion, 0
	.set _Z14moving_averageILj256ELj97EEvPKjPjj.has_indirect_call, 0
	.section	.AMDGPU.csdata,"",@progbits
; Kernel info:
; codeLenInByte = 432
; TotalNumSgprs: 17
; NumVgprs: 12
; ScratchSize: 0
; MemoryBound: 0
; FloatMode: 240
; IeeeMode: 1
; LDSByteSize: 1408 bytes/workgroup (compile time only)
; SGPRBlocks: 2
; VGPRBlocks: 2
; NumSGPRsForWavesPerEU: 17
; NumVGPRsForWavesPerEU: 12
; Occupancy: 10
; WaveLimiterHint : 0
; COMPUTE_PGM_RSRC2:SCRATCH_EN: 0
; COMPUTE_PGM_RSRC2:USER_SGPR: 6
; COMPUTE_PGM_RSRC2:TRAP_HANDLER: 0
; COMPUTE_PGM_RSRC2:TGID_X_EN: 1
; COMPUTE_PGM_RSRC2:TGID_Y_EN: 0
; COMPUTE_PGM_RSRC2:TGID_Z_EN: 0
; COMPUTE_PGM_RSRC2:TIDIG_COMP_CNT: 0
	.section	.AMDGPU.gpr_maximums,"",@progbits
	.set amdgpu.max_num_vgpr, 0
	.set amdgpu.max_num_agpr, 0
	.set amdgpu.max_num_sgpr, 0
	.section	.AMDGPU.csdata,"",@progbits
	.type	__hip_cuid_50a8db1d1ef41c3f,@object ; @__hip_cuid_50a8db1d1ef41c3f
	.section	.bss,"aw",@nobits
	.globl	__hip_cuid_50a8db1d1ef41c3f
__hip_cuid_50a8db1d1ef41c3f:
	.byte	0                               ; 0x0
	.size	__hip_cuid_50a8db1d1ef41c3f, 1

	.ident	"AMD clang version 22.0.0git (https://github.com/RadeonOpenCompute/llvm-project roc-7.2.4 26084 f58b06dce1f9c15707c5f808fd002e18c2accf7e)"
	.section	".note.GNU-stack","",@progbits
	.addrsig
	.addrsig_sym __hip_cuid_50a8db1d1ef41c3f
	.amdgpu_metadata
---
amdhsa.kernels:
  - .args:
      - .address_space:  global
        .offset:         0
        .size:           8
        .value_kind:     global_buffer
      - .address_space:  global
        .offset:         8
        .size:           8
        .value_kind:     global_buffer
      - .offset:         16
        .size:           4
        .value_kind:     by_value
      - .offset:         24
        .size:           4
        .value_kind:     hidden_block_count_x
      - .offset:         28
        .size:           4
        .value_kind:     hidden_block_count_y
      - .offset:         32
        .size:           4
        .value_kind:     hidden_block_count_z
      - .offset:         36
        .size:           2
        .value_kind:     hidden_group_size_x
      - .offset:         38
        .size:           2
        .value_kind:     hidden_group_size_y
      - .offset:         40
        .size:           2
        .value_kind:     hidden_group_size_z
      - .offset:         42
        .size:           2
        .value_kind:     hidden_remainder_x
      - .offset:         44
        .size:           2
        .value_kind:     hidden_remainder_y
      - .offset:         46
        .size:           2
        .value_kind:     hidden_remainder_z
      - .offset:         64
        .size:           8
        .value_kind:     hidden_global_offset_x
      - .offset:         72
        .size:           8
        .value_kind:     hidden_global_offset_y
      - .offset:         80
        .size:           8
        .value_kind:     hidden_global_offset_z
      - .offset:         88
        .size:           2
        .value_kind:     hidden_grid_dims
    .group_segment_fixed_size: 1408
    .kernarg_segment_align: 8
    .kernarg_segment_size: 280
    .language:       OpenCL C
    .language_version:
      - 2
      - 0
    .max_flat_workgroup_size: 1024
    .name:           _Z14moving_averageILj256ELj97EEvPKjPjj
    .private_segment_fixed_size: 0
    .sgpr_count:     17
    .sgpr_spill_count: 0
    .symbol:         _Z14moving_averageILj256ELj97EEvPKjPjj.kd
    .uniform_work_group_size: 1
    .uses_dynamic_stack: false
    .vgpr_count:     12
    .vgpr_spill_count: 0
    .wavefront_size: 64
amdhsa.target:   amdgcn-amd-amdhsa--gfx906
amdhsa.version:
  - 1
  - 2
...

	.end_amdgpu_metadata
